;; amdgpu-corpus repo=ROCm/rocFFT kind=compiled arch=gfx1201 opt=O3
	.text
	.amdgcn_target "amdgcn-amd-amdhsa--gfx1201"
	.amdhsa_code_object_version 6
	.protected	fft_rtc_fwd_len192_factors_6_4_4_2_wgs_128_tpt_16_halfLds_dp_ip_CI_unitstride_sbrr_dirReg ; -- Begin function fft_rtc_fwd_len192_factors_6_4_4_2_wgs_128_tpt_16_halfLds_dp_ip_CI_unitstride_sbrr_dirReg
	.globl	fft_rtc_fwd_len192_factors_6_4_4_2_wgs_128_tpt_16_halfLds_dp_ip_CI_unitstride_sbrr_dirReg
	.p2align	8
	.type	fft_rtc_fwd_len192_factors_6_4_4_2_wgs_128_tpt_16_halfLds_dp_ip_CI_unitstride_sbrr_dirReg,@function
fft_rtc_fwd_len192_factors_6_4_4_2_wgs_128_tpt_16_halfLds_dp_ip_CI_unitstride_sbrr_dirReg: ; @fft_rtc_fwd_len192_factors_6_4_4_2_wgs_128_tpt_16_halfLds_dp_ip_CI_unitstride_sbrr_dirReg
; %bb.0:
	s_clause 0x2
	s_load_b128 s[4:7], s[0:1], 0x0
	s_load_b64 s[8:9], s[0:1], 0x50
	s_load_b64 s[10:11], s[0:1], 0x18
	v_lshrrev_b32_e32 v53, 4, v0
	v_mov_b32_e32 v3, 0
	v_mov_b32_e32 v1, 0
	;; [unrolled: 1-line block ×3, first 2 shown]
	s_delay_alu instid0(VALU_DEP_4) | instskip(NEXT) | instid1(VALU_DEP_4)
	v_lshl_or_b32 v5, ttmp9, 3, v53
	v_mov_b32_e32 v6, v3
	s_wait_kmcnt 0x0
	v_cmp_lt_u64_e64 s2, s[6:7], 2
	s_delay_alu instid0(VALU_DEP_1)
	s_and_b32 vcc_lo, exec_lo, s2
	s_cbranch_vccnz .LBB0_8
; %bb.1:
	s_load_b64 s[2:3], s[0:1], 0x10
	v_mov_b32_e32 v1, 0
	v_mov_b32_e32 v2, 0
	s_add_nc_u64 s[12:13], s[10:11], 8
	s_mov_b64 s[14:15], 1
	s_wait_kmcnt 0x0
	s_add_nc_u64 s[16:17], s[2:3], 8
	s_mov_b32 s3, 0
.LBB0_2:                                ; =>This Inner Loop Header: Depth=1
	s_load_b64 s[18:19], s[16:17], 0x0
                                        ; implicit-def: $vgpr7_vgpr8
	s_mov_b32 s2, exec_lo
	s_wait_kmcnt 0x0
	v_or_b32_e32 v4, s19, v6
	s_delay_alu instid0(VALU_DEP_1)
	v_cmpx_ne_u64_e32 0, v[3:4]
	s_wait_alu 0xfffe
	s_xor_b32 s20, exec_lo, s2
	s_cbranch_execz .LBB0_4
; %bb.3:                                ;   in Loop: Header=BB0_2 Depth=1
	s_cvt_f32_u32 s2, s18
	s_cvt_f32_u32 s21, s19
	s_sub_nc_u64 s[24:25], 0, s[18:19]
	s_wait_alu 0xfffe
	s_delay_alu instid0(SALU_CYCLE_1) | instskip(SKIP_1) | instid1(SALU_CYCLE_2)
	s_fmamk_f32 s2, s21, 0x4f800000, s2
	s_wait_alu 0xfffe
	v_s_rcp_f32 s2, s2
	s_delay_alu instid0(TRANS32_DEP_1) | instskip(SKIP_1) | instid1(SALU_CYCLE_2)
	s_mul_f32 s2, s2, 0x5f7ffffc
	s_wait_alu 0xfffe
	s_mul_f32 s21, s2, 0x2f800000
	s_wait_alu 0xfffe
	s_delay_alu instid0(SALU_CYCLE_2) | instskip(SKIP_1) | instid1(SALU_CYCLE_2)
	s_trunc_f32 s21, s21
	s_wait_alu 0xfffe
	s_fmamk_f32 s2, s21, 0xcf800000, s2
	s_cvt_u32_f32 s23, s21
	s_wait_alu 0xfffe
	s_delay_alu instid0(SALU_CYCLE_1) | instskip(SKIP_1) | instid1(SALU_CYCLE_2)
	s_cvt_u32_f32 s22, s2
	s_wait_alu 0xfffe
	s_mul_u64 s[26:27], s[24:25], s[22:23]
	s_wait_alu 0xfffe
	s_mul_hi_u32 s29, s22, s27
	s_mul_i32 s28, s22, s27
	s_mul_hi_u32 s2, s22, s26
	s_mul_i32 s30, s23, s26
	s_wait_alu 0xfffe
	s_add_nc_u64 s[28:29], s[2:3], s[28:29]
	s_mul_hi_u32 s21, s23, s26
	s_mul_hi_u32 s31, s23, s27
	s_add_co_u32 s2, s28, s30
	s_wait_alu 0xfffe
	s_add_co_ci_u32 s2, s29, s21
	s_mul_i32 s26, s23, s27
	s_add_co_ci_u32 s27, s31, 0
	s_wait_alu 0xfffe
	s_add_nc_u64 s[26:27], s[2:3], s[26:27]
	s_wait_alu 0xfffe
	v_add_co_u32 v4, s2, s22, s26
	s_delay_alu instid0(VALU_DEP_1) | instskip(SKIP_1) | instid1(VALU_DEP_1)
	s_cmp_lg_u32 s2, 0
	s_add_co_ci_u32 s23, s23, s27
	v_readfirstlane_b32 s22, v4
	s_wait_alu 0xfffe
	s_delay_alu instid0(VALU_DEP_1)
	s_mul_u64 s[24:25], s[24:25], s[22:23]
	s_wait_alu 0xfffe
	s_mul_hi_u32 s27, s22, s25
	s_mul_i32 s26, s22, s25
	s_mul_hi_u32 s2, s22, s24
	s_mul_i32 s28, s23, s24
	s_wait_alu 0xfffe
	s_add_nc_u64 s[26:27], s[2:3], s[26:27]
	s_mul_hi_u32 s21, s23, s24
	s_mul_hi_u32 s22, s23, s25
	s_wait_alu 0xfffe
	s_add_co_u32 s2, s26, s28
	s_add_co_ci_u32 s2, s27, s21
	s_mul_i32 s24, s23, s25
	s_add_co_ci_u32 s25, s22, 0
	s_wait_alu 0xfffe
	s_add_nc_u64 s[24:25], s[2:3], s[24:25]
	s_wait_alu 0xfffe
	v_add_co_u32 v4, s2, v4, s24
	s_delay_alu instid0(VALU_DEP_1) | instskip(SKIP_1) | instid1(VALU_DEP_1)
	s_cmp_lg_u32 s2, 0
	s_add_co_ci_u32 s2, s23, s25
	v_mul_hi_u32 v13, v5, v4
	s_wait_alu 0xfffe
	v_mad_co_u64_u32 v[7:8], null, v5, s2, 0
	v_mad_co_u64_u32 v[9:10], null, v6, v4, 0
	;; [unrolled: 1-line block ×3, first 2 shown]
	s_delay_alu instid0(VALU_DEP_3) | instskip(SKIP_1) | instid1(VALU_DEP_4)
	v_add_co_u32 v4, vcc_lo, v13, v7
	s_wait_alu 0xfffd
	v_add_co_ci_u32_e32 v7, vcc_lo, 0, v8, vcc_lo
	s_delay_alu instid0(VALU_DEP_2) | instskip(SKIP_1) | instid1(VALU_DEP_2)
	v_add_co_u32 v4, vcc_lo, v4, v9
	s_wait_alu 0xfffd
	v_add_co_ci_u32_e32 v4, vcc_lo, v7, v10, vcc_lo
	s_wait_alu 0xfffd
	v_add_co_ci_u32_e32 v7, vcc_lo, 0, v12, vcc_lo
	s_delay_alu instid0(VALU_DEP_2) | instskip(SKIP_1) | instid1(VALU_DEP_2)
	v_add_co_u32 v4, vcc_lo, v4, v11
	s_wait_alu 0xfffd
	v_add_co_ci_u32_e32 v9, vcc_lo, 0, v7, vcc_lo
	s_delay_alu instid0(VALU_DEP_2) | instskip(SKIP_1) | instid1(VALU_DEP_3)
	v_mul_lo_u32 v10, s19, v4
	v_mad_co_u64_u32 v[7:8], null, s18, v4, 0
	v_mul_lo_u32 v11, s18, v9
	s_delay_alu instid0(VALU_DEP_2) | instskip(NEXT) | instid1(VALU_DEP_2)
	v_sub_co_u32 v7, vcc_lo, v5, v7
	v_add3_u32 v8, v8, v11, v10
	s_delay_alu instid0(VALU_DEP_1) | instskip(SKIP_1) | instid1(VALU_DEP_1)
	v_sub_nc_u32_e32 v10, v6, v8
	s_wait_alu 0xfffd
	v_subrev_co_ci_u32_e64 v10, s2, s19, v10, vcc_lo
	v_add_co_u32 v11, s2, v4, 2
	s_wait_alu 0xf1ff
	v_add_co_ci_u32_e64 v12, s2, 0, v9, s2
	v_sub_co_u32 v13, s2, v7, s18
	v_sub_co_ci_u32_e32 v8, vcc_lo, v6, v8, vcc_lo
	s_wait_alu 0xf1ff
	v_subrev_co_ci_u32_e64 v10, s2, 0, v10, s2
	s_delay_alu instid0(VALU_DEP_3) | instskip(NEXT) | instid1(VALU_DEP_3)
	v_cmp_le_u32_e32 vcc_lo, s18, v13
	v_cmp_eq_u32_e64 s2, s19, v8
	s_wait_alu 0xfffd
	v_cndmask_b32_e64 v13, 0, -1, vcc_lo
	v_cmp_le_u32_e32 vcc_lo, s19, v10
	s_wait_alu 0xfffd
	v_cndmask_b32_e64 v14, 0, -1, vcc_lo
	v_cmp_le_u32_e32 vcc_lo, s18, v7
	;; [unrolled: 3-line block ×3, first 2 shown]
	s_wait_alu 0xfffd
	v_cndmask_b32_e64 v15, 0, -1, vcc_lo
	v_cmp_eq_u32_e32 vcc_lo, s19, v10
	s_wait_alu 0xf1ff
	s_delay_alu instid0(VALU_DEP_2)
	v_cndmask_b32_e64 v7, v15, v7, s2
	s_wait_alu 0xfffd
	v_cndmask_b32_e32 v10, v14, v13, vcc_lo
	v_add_co_u32 v13, vcc_lo, v4, 1
	s_wait_alu 0xfffd
	v_add_co_ci_u32_e32 v14, vcc_lo, 0, v9, vcc_lo
	s_delay_alu instid0(VALU_DEP_3) | instskip(SKIP_2) | instid1(VALU_DEP_3)
	v_cmp_ne_u32_e32 vcc_lo, 0, v10
	s_wait_alu 0xfffd
	v_cndmask_b32_e32 v10, v13, v11, vcc_lo
	v_cndmask_b32_e32 v8, v14, v12, vcc_lo
	v_cmp_ne_u32_e32 vcc_lo, 0, v7
	s_wait_alu 0xfffd
	s_delay_alu instid0(VALU_DEP_2)
	v_dual_cndmask_b32 v7, v4, v10 :: v_dual_cndmask_b32 v8, v9, v8
.LBB0_4:                                ;   in Loop: Header=BB0_2 Depth=1
	s_wait_alu 0xfffe
	s_and_not1_saveexec_b32 s2, s20
	s_cbranch_execz .LBB0_6
; %bb.5:                                ;   in Loop: Header=BB0_2 Depth=1
	v_cvt_f32_u32_e32 v4, s18
	s_sub_co_i32 s20, 0, s18
	s_delay_alu instid0(VALU_DEP_1) | instskip(NEXT) | instid1(TRANS32_DEP_1)
	v_rcp_iflag_f32_e32 v4, v4
	v_mul_f32_e32 v4, 0x4f7ffffe, v4
	s_delay_alu instid0(VALU_DEP_1) | instskip(SKIP_1) | instid1(VALU_DEP_1)
	v_cvt_u32_f32_e32 v4, v4
	s_wait_alu 0xfffe
	v_mul_lo_u32 v7, s20, v4
	s_delay_alu instid0(VALU_DEP_1) | instskip(NEXT) | instid1(VALU_DEP_1)
	v_mul_hi_u32 v7, v4, v7
	v_add_nc_u32_e32 v4, v4, v7
	s_delay_alu instid0(VALU_DEP_1) | instskip(NEXT) | instid1(VALU_DEP_1)
	v_mul_hi_u32 v4, v5, v4
	v_mul_lo_u32 v7, v4, s18
	v_add_nc_u32_e32 v8, 1, v4
	s_delay_alu instid0(VALU_DEP_2) | instskip(NEXT) | instid1(VALU_DEP_1)
	v_sub_nc_u32_e32 v7, v5, v7
	v_subrev_nc_u32_e32 v9, s18, v7
	v_cmp_le_u32_e32 vcc_lo, s18, v7
	s_wait_alu 0xfffd
	s_delay_alu instid0(VALU_DEP_2) | instskip(NEXT) | instid1(VALU_DEP_1)
	v_dual_cndmask_b32 v7, v7, v9 :: v_dual_cndmask_b32 v4, v4, v8
	v_cmp_le_u32_e32 vcc_lo, s18, v7
	s_delay_alu instid0(VALU_DEP_2) | instskip(SKIP_1) | instid1(VALU_DEP_1)
	v_add_nc_u32_e32 v8, 1, v4
	s_wait_alu 0xfffd
	v_dual_cndmask_b32 v7, v4, v8 :: v_dual_mov_b32 v8, v3
.LBB0_6:                                ;   in Loop: Header=BB0_2 Depth=1
	s_wait_alu 0xfffe
	s_or_b32 exec_lo, exec_lo, s2
	s_load_b64 s[20:21], s[12:13], 0x0
	s_delay_alu instid0(VALU_DEP_1)
	v_mul_lo_u32 v4, v8, s18
	v_mul_lo_u32 v11, v7, s19
	v_mad_co_u64_u32 v[9:10], null, v7, s18, 0
	s_add_nc_u64 s[14:15], s[14:15], 1
	s_add_nc_u64 s[12:13], s[12:13], 8
	s_wait_alu 0xfffe
	v_cmp_ge_u64_e64 s2, s[14:15], s[6:7]
	s_add_nc_u64 s[16:17], s[16:17], 8
	s_delay_alu instid0(VALU_DEP_2) | instskip(NEXT) | instid1(VALU_DEP_3)
	v_add3_u32 v4, v10, v11, v4
	v_sub_co_u32 v5, vcc_lo, v5, v9
	s_wait_alu 0xfffd
	s_delay_alu instid0(VALU_DEP_2) | instskip(SKIP_3) | instid1(VALU_DEP_2)
	v_sub_co_ci_u32_e32 v4, vcc_lo, v6, v4, vcc_lo
	s_and_b32 vcc_lo, exec_lo, s2
	s_wait_kmcnt 0x0
	v_mul_lo_u32 v6, s21, v5
	v_mul_lo_u32 v4, s20, v4
	v_mad_co_u64_u32 v[1:2], null, s20, v5, v[1:2]
	s_delay_alu instid0(VALU_DEP_1)
	v_add3_u32 v2, v6, v2, v4
	s_wait_alu 0xfffe
	s_cbranch_vccnz .LBB0_9
; %bb.7:                                ;   in Loop: Header=BB0_2 Depth=1
	v_dual_mov_b32 v5, v7 :: v_dual_mov_b32 v6, v8
	s_branch .LBB0_2
.LBB0_8:
	v_dual_mov_b32 v8, v6 :: v_dual_mov_b32 v7, v5
.LBB0_9:
	s_lshl_b64 s[2:3], s[6:7], 3
	v_and_b32_e32 v51, 15, v0
	s_wait_alu 0xfffe
	s_add_nc_u64 s[2:3], s[10:11], s[2:3]
	s_load_b64 s[2:3], s[2:3], 0x0
	s_load_b64 s[0:1], s[0:1], 0x20
	v_or_b32_e32 v50, 16, v51
	v_or_b32_e32 v52, 48, v51
	;; [unrolled: 1-line block ×5, first 2 shown]
	s_wait_kmcnt 0x0
	v_mul_lo_u32 v3, s2, v8
	v_mul_lo_u32 v4, s3, v7
	v_mad_co_u64_u32 v[0:1], null, s2, v7, v[1:2]
	v_cmp_gt_u64_e32 vcc_lo, s[0:1], v[7:8]
	v_cmp_le_u64_e64 s0, s[0:1], v[7:8]
	s_delay_alu instid0(VALU_DEP_3) | instskip(NEXT) | instid1(VALU_DEP_2)
	v_add3_u32 v1, v4, v1, v3
	s_and_saveexec_b32 s1, s0
	s_wait_alu 0xfffe
	s_xor_b32 s0, exec_lo, s1
; %bb.10:
	v_or_b32_e32 v50, 16, v51
	v_or_b32_e32 v52, 48, v51
	;; [unrolled: 1-line block ×5, first 2 shown]
; %bb.11:
	s_wait_alu 0xfffe
	s_or_saveexec_b32 s1, s0
	v_lshlrev_b64_e32 v[48:49], 4, v[0:1]
	v_lshlrev_b32_e32 v59, 4, v51
                                        ; implicit-def: $vgpr30_vgpr31
                                        ; implicit-def: $vgpr26_vgpr27
                                        ; implicit-def: $vgpr6_vgpr7
                                        ; implicit-def: $vgpr22_vgpr23
                                        ; implicit-def: $vgpr46_vgpr47
                                        ; implicit-def: $vgpr10_vgpr11
                                        ; implicit-def: $vgpr14_vgpr15
                                        ; implicit-def: $vgpr34_vgpr35
                                        ; implicit-def: $vgpr38_vgpr39
                                        ; implicit-def: $vgpr2_vgpr3
                                        ; implicit-def: $vgpr42_vgpr43
                                        ; implicit-def: $vgpr18_vgpr19
	s_wait_alu 0xfffe
	s_xor_b32 exec_lo, exec_lo, s1
; %bb.12:
	s_delay_alu instid0(VALU_DEP_2) | instskip(SKIP_2) | instid1(VALU_DEP_2)
	v_add_co_u32 v0, s0, s8, v48
	s_wait_alu 0xf1ff
	v_add_co_ci_u32_e64 v1, s0, s9, v49, s0
	v_add_co_u32 v12, s0, v0, v59
	s_wait_alu 0xf1ff
	s_delay_alu instid0(VALU_DEP_2)
	v_add_co_ci_u32_e64 v13, s0, 0, v1, s0
	s_clause 0xb
	global_load_b128 v[16:19], v[12:13], off
	global_load_b128 v[20:23], v[12:13], off offset:256
	global_load_b128 v[28:31], v[12:13], off offset:512
	;; [unrolled: 1-line block ×11, first 2 shown]
; %bb.13:
	s_or_b32 exec_lo, exec_lo, s1
	s_wait_loadcnt 0x1
	v_add_f64_e32 v[60:61], v[4:5], v[40:41]
	s_wait_loadcnt 0x0
	v_add_f64_e32 v[62:63], v[44:45], v[12:13]
	v_add_f64_e32 v[64:65], v[6:7], v[42:43]
	;; [unrolled: 1-line block ×3, first 2 shown]
	v_add_f64_e64 v[68:69], v[42:43], -v[6:7]
	v_add_f64_e64 v[70:71], v[46:47], -v[14:15]
	;; [unrolled: 1-line block ×4, first 2 shown]
	s_mov_b32 s2, 0xe8584caa
	s_mov_b32 s3, 0x3febb67a
	s_mov_b32 s1, 0xbfebb67a
	s_wait_alu 0xfffe
	s_mov_b32 s0, s2
	v_add_f64_e32 v[76:77], v[24:25], v[0:1]
	v_add_f64_e32 v[84:85], v[10:11], v[34:35]
	;; [unrolled: 1-line block ×3, first 2 shown]
	v_add_f64_e64 v[24:25], v[24:25], -v[0:1]
	v_fma_f64 v[60:61], v[60:61], -0.5, v[28:29]
	v_fma_f64 v[62:63], v[62:63], -0.5, v[36:37]
	;; [unrolled: 1-line block ×4, first 2 shown]
	v_add_f64_e32 v[28:29], v[28:29], v[40:41]
	v_add_f64_e32 v[30:31], v[30:31], v[42:43]
	v_add_f64_e64 v[40:41], v[26:27], -v[2:3]
	v_add_f64_e32 v[42:43], v[20:21], v[32:33]
	v_add_f64_e32 v[36:37], v[44:45], v[36:37]
	;; [unrolled: 1-line block ×3, first 2 shown]
	v_add_f64_e64 v[44:45], v[34:35], -v[10:11]
	v_fma_f64 v[16:17], v[76:77], -0.5, v[16:17]
	v_fma_f64 v[78:79], v[68:69], s[2:3], v[60:61]
	s_wait_alu 0xfffe
	v_fma_f64 v[60:61], v[68:69], s[0:1], v[60:61]
	v_add_f64_e32 v[68:69], v[8:9], v[32:33]
	v_fma_f64 v[80:81], v[70:71], s[2:3], v[62:63]
	v_fma_f64 v[62:63], v[70:71], s[0:1], v[62:63]
	v_add_f64_e32 v[70:71], v[26:27], v[2:3]
	v_fma_f64 v[82:83], v[72:73], s[2:3], v[64:65]
	v_fma_f64 v[88:89], v[74:75], s[2:3], v[66:67]
	;; [unrolled: 1-line block ×4, first 2 shown]
	v_add_f64_e64 v[32:33], v[32:33], -v[8:9]
	v_add_f64_e32 v[28:29], v[4:5], v[28:29]
	v_add_f64_e32 v[42:43], v[8:9], v[42:43]
	;; [unrolled: 1-line block ×5, first 2 shown]
	v_and_b32_e32 v4, 0xff, v50
	s_delay_alu instid0(VALU_DEP_1) | instskip(NEXT) | instid1(VALU_DEP_1)
	v_mul_lo_u16 v4, 0xab, v4
	v_lshrrev_b16 v56, 10, v4
	v_mul_f64_e32 v[64:65], 0.5, v[78:79]
	v_mul_f64_e32 v[72:73], -0.5, v[60:61]
	v_fma_f64 v[20:21], v[68:69], -0.5, v[20:21]
	v_mul_f64_e32 v[68:69], 0.5, v[80:81]
	v_mul_f64_e32 v[74:75], -0.5, v[62:63]
	v_fma_f64 v[70:71], v[70:71], -0.5, v[18:19]
	v_add_f64_e32 v[18:19], v[26:27], v[18:19]
	v_add_f64_e32 v[26:27], v[22:23], v[34:35]
	v_mul_f64_e32 v[34:35], s[0:1], v[78:79]
	v_mul_f64_e32 v[76:77], -0.5, v[82:83]
	v_fma_f64 v[22:23], v[84:85], -0.5, v[22:23]
	v_mul_f64_e32 v[78:79], s[0:1], v[80:81]
	v_mul_f64_e32 v[80:81], -0.5, v[88:89]
	v_add_f64_e32 v[84:85], v[0:1], v[86:87]
	v_fma_f64 v[86:87], v[40:41], s[2:3], v[16:17]
	v_fma_f64 v[40:41], v[40:41], s[0:1], v[16:17]
	v_mul_lo_u16 v1, v51, 43
	v_mul_u32_u24_e32 v0, 0xc0, v53
	s_delay_alu instid0(VALU_DEP_2) | instskip(NEXT) | instid1(VALU_DEP_2)
	v_lshrrev_b16 v53, 8, v1
	v_lshlrev_b32_e32 v0, 3, v0
	s_delay_alu instid0(VALU_DEP_1)
	v_add_nc_u32_e32 v1, 0, v0
	v_fma_f64 v[64:65], v[46:47], s[2:3], v[64:65]
	v_fma_f64 v[72:73], v[82:83], s[2:3], v[72:73]
	v_fma_f64 v[82:83], v[44:45], s[2:3], v[20:21]
	v_fma_f64 v[44:45], v[44:45], s[0:1], v[20:21]
	v_fma_f64 v[74:75], v[88:89], s[2:3], v[74:75]
	v_fma_f64 v[92:93], v[24:25], s[0:1], v[70:71]
	v_add_f64_e32 v[88:89], v[2:3], v[18:19]
	v_add_f64_e32 v[90:91], v[10:11], v[26:27]
	v_fma_f64 v[46:47], v[46:47], 0.5, v[34:35]
	v_fma_f64 v[70:71], v[24:25], s[2:3], v[70:71]
	v_fma_f64 v[60:61], v[60:61], s[0:1], v[76:77]
	;; [unrolled: 1-line block ×4, first 2 shown]
	v_fma_f64 v[78:79], v[66:67], 0.5, v[78:79]
	v_fma_f64 v[23:24], v[32:33], s[2:3], v[22:23]
	v_fma_f64 v[80:81], v[62:63], s[0:1], v[80:81]
	v_add_f64_e32 v[3:4], v[28:29], v[84:85]
	v_add_f64_e32 v[11:12], v[42:43], v[36:37]
	v_add_f64_e64 v[17:18], v[42:43], -v[36:37]
	v_add_f64_e64 v[9:10], v[84:85], -v[28:29]
	v_mul_lo_u16 v26, v53, 6
	v_mul_lo_u16 v27, v56, 6
	v_mul_u32_u24_e32 v25, 6, v51
	v_mul_i32_i24_e32 v28, 6, v50
	v_lshlrev_b32_e32 v2, 3, v51
	v_sub_nc_u16 v94, v51, v26
	v_sub_nc_u16 v95, v50, v27
	v_lshl_add_u32 v58, v25, 3, v1
	v_lshl_add_u32 v26, v52, 3, v1
	v_add_nc_u32_e32 v25, v1, v2
	v_mul_lo_u16 v29, v94, 3
	v_lshl_add_u32 v27, v54, 3, v1
	v_mul_lo_u16 v53, v53, 24
	v_mul_lo_u16 v56, v56, 24
	v_cmp_gt_u32_e64 s0, 24, v50
	s_delay_alu instid0(VALU_DEP_3)
	v_or_b32_e32 v53, v53, v94
	v_add_f64_e32 v[5:6], v[86:87], v[64:65]
	v_add_f64_e32 v[7:8], v[40:41], v[72:73]
	v_add_f64_e64 v[21:22], v[40:41], -v[72:73]
	v_add_f64_e64 v[19:20], v[86:87], -v[64:65]
	v_add_f64_e32 v[15:16], v[44:45], v[74:75]
	v_add_f64_e64 v[34:35], v[44:45], -v[74:75]
	v_add_f64_e32 v[36:37], v[30:31], v[88:89]
	v_add_f64_e32 v[44:45], v[90:91], v[38:39]
	v_add_f64_e64 v[62:63], v[90:91], -v[38:39]
	v_add_f64_e32 v[38:39], v[92:93], v[46:47]
	v_add_f64_e64 v[42:43], v[88:89], -v[30:31]
	;; [unrolled: 2-line block ×3, first 2 shown]
	v_add_f64_e64 v[66:67], v[70:71], -v[60:61]
	v_add_f64_e32 v[13:14], v[82:83], v[68:69]
	v_add_f64_e32 v[46:47], v[76:77], v[78:79]
	;; [unrolled: 1-line block ×3, first 2 shown]
	v_add_f64_e64 v[32:33], v[82:83], -v[68:69]
	v_add_f64_e64 v[68:69], v[76:77], -v[78:79]
	;; [unrolled: 1-line block ×3, first 2 shown]
	v_mul_lo_u16 v72, v95, 3
	v_and_b32_e32 v23, 0xff, v29
	v_lshl_add_u32 v82, v28, 3, v1
	v_mad_i32_i24 v31, 0xffffffd8, v51, v58
	v_lshl_add_u32 v28, v55, 3, v1
	v_and_b32_e32 v24, 0xff, v72
	v_lshlrev_b32_e32 v83, 4, v23
	v_mad_i32_i24 v29, 0xffffffd8, v50, v82
	v_lshl_add_u32 v30, v57, 3, v1
	v_or_b32_e32 v56, v56, v95
	v_lshlrev_b32_e32 v84, 4, v24
	v_and_b32_e32 v53, 0xff, v53
	ds_store_b128 v58, v[3:6]
	ds_store_b128 v58, v[7:10] offset:16
	ds_store_b128 v58, v[19:22] offset:32
	ds_store_b128 v82, v[11:14]
	ds_store_b128 v82, v[15:18] offset:16
	ds_store_b128 v82, v[32:35] offset:32
	global_wb scope:SCOPE_SE
	s_wait_dscnt 0x0
	s_barrier_signal -1
	s_barrier_wait -1
	global_inv scope:SCOPE_SE
	ds_load_2addr_b64 v[3:6], v31 offset0:96 offset1:112
	ds_load_2addr_b64 v[7:10], v31 offset0:128 offset1:144
	ds_load_b64 v[72:73], v25
	ds_load_b64 v[23:24], v26
	;; [unrolled: 1-line block ×4, first 2 shown]
	ds_load_2addr_b64 v[11:14], v31 offset0:160 offset1:176
	ds_load_b64 v[78:79], v27
	ds_load_b64 v[80:81], v30
	global_wb scope:SCOPE_SE
	s_wait_dscnt 0x0
	s_barrier_signal -1
	s_barrier_wait -1
	global_inv scope:SCOPE_SE
	ds_store_b128 v58, v[36:39]
	ds_store_b128 v58, v[40:43] offset:16
	ds_store_b128 v58, v[64:67] offset:32
	ds_store_b128 v82, v[44:47]
	ds_store_b128 v82, v[60:63] offset:16
	ds_store_b128 v82, v[68:71] offset:32
	global_wb scope:SCOPE_SE
	s_wait_dscnt 0x0
	s_barrier_signal -1
	s_barrier_wait -1
	global_inv scope:SCOPE_SE
	s_clause 0x4
	global_load_b128 v[15:18], v83, s[4:5] offset:16
	global_load_b128 v[19:22], v84, s[4:5] offset:16
	global_load_b128 v[32:35], v83, s[4:5]
	global_load_b128 v[36:39], v84, s[4:5]
	global_load_b128 v[40:43], v83, s[4:5] offset:32
	v_and_b32_e32 v44, 0xff, v54
	ds_load_2addr_b64 v[60:63], v31 offset0:96 offset1:112
	v_and_b32_e32 v56, 0xff, v56
	v_lshl_add_u32 v53, v53, 3, v1
	v_mul_lo_u16 v44, 0xab, v44
	s_delay_alu instid0(VALU_DEP_3) | instskip(NEXT) | instid1(VALU_DEP_2)
	v_lshl_add_u32 v56, v56, 3, v1
	v_lshrrev_b16 v58, 10, v44
	s_delay_alu instid0(VALU_DEP_1) | instskip(SKIP_1) | instid1(VALU_DEP_2)
	v_mul_lo_u16 v44, v58, 6
	v_mul_lo_u16 v58, v58, 24
	v_sub_nc_u16 v88, v54, v44
	s_delay_alu instid0(VALU_DEP_1) | instskip(NEXT) | instid1(VALU_DEP_3)
	v_mul_lo_u16 v44, v88, 3
	v_or_b32_e32 v58, v58, v88
	s_delay_alu instid0(VALU_DEP_2) | instskip(NEXT) | instid1(VALU_DEP_1)
	v_and_b32_e32 v44, 0xff, v44
	v_lshlrev_b32_e32 v82, 4, v44
	s_clause 0x1
	global_load_b128 v[44:47], v82, s[4:5]
	global_load_b128 v[64:67], v82, s[4:5] offset:16
	s_wait_loadcnt_dscnt 0x600
	v_mul_f64_e32 v[68:69], v[60:61], v[17:18]
	v_mul_f64_e32 v[17:18], v[3:4], v[17:18]
	s_wait_loadcnt 0x5
	v_mul_f64_e32 v[70:71], v[62:63], v[21:22]
	v_mul_f64_e32 v[21:22], v[5:6], v[21:22]
	s_delay_alu instid0(VALU_DEP_4) | instskip(NEXT) | instid1(VALU_DEP_4)
	v_fma_f64 v[68:69], v[3:4], v[15:16], -v[68:69]
	v_fma_f64 v[60:61], v[60:61], v[15:16], v[17:18]
	global_load_b128 v[15:18], v84, s[4:5] offset:32
	v_fma_f64 v[70:71], v[5:6], v[19:20], -v[70:71]
	global_load_b128 v[3:6], v82, s[4:5] offset:32
	v_fma_f64 v[62:63], v[62:63], v[19:20], v[21:22]
	ds_load_b64 v[19:20], v26
	ds_load_b64 v[82:83], v29
	;; [unrolled: 1-line block ×3, first 2 shown]
	s_wait_loadcnt_dscnt 0x602
	v_mul_f64_e32 v[21:22], v[19:20], v[34:35]
	s_delay_alu instid0(VALU_DEP_1) | instskip(SKIP_3) | instid1(VALU_DEP_2)
	v_fma_f64 v[86:87], v[23:24], v[32:33], -v[21:22]
	v_mul_f64_e32 v[21:22], v[23:24], v[34:35]
	s_wait_loadcnt 0x5
	v_mul_f64_e32 v[23:24], v[76:77], v[38:39]
	v_fma_f64 v[32:33], v[19:20], v[32:33], v[21:22]
	s_wait_dscnt 0x0
	v_mul_f64_e32 v[19:20], v[84:85], v[38:39]
	s_wait_loadcnt 0x4
	v_mul_f64_e32 v[38:39], v[9:10], v[42:43]
	s_delay_alu instid0(VALU_DEP_2)
	v_fma_f64 v[34:35], v[76:77], v[36:37], -v[19:20]
	ds_load_2addr_b64 v[19:22], v31 offset0:128 offset1:144
	v_fma_f64 v[36:37], v[84:85], v[36:37], v[23:24]
	s_wait_dscnt 0x0
	v_mul_f64_e32 v[23:24], v[21:22], v[42:43]
	ds_load_b64 v[42:43], v30
	v_fma_f64 v[38:39], v[21:22], v[40:41], v[38:39]
	s_wait_loadcnt_dscnt 0x300
	v_mul_f64_e32 v[21:22], v[42:43], v[46:47]
	v_fma_f64 v[9:10], v[9:10], v[40:41], -v[23:24]
	v_mul_f64_e32 v[23:24], v[80:81], v[46:47]
	s_wait_loadcnt 0x2
	v_mul_f64_e32 v[46:47], v[19:20], v[66:67]
	v_add_f64_e64 v[38:39], v[32:33], -v[38:39]
	v_fma_f64 v[40:41], v[80:81], v[44:45], -v[21:22]
	v_add_f64_e64 v[9:10], v[86:87], -v[9:10]
	v_fma_f64 v[42:43], v[42:43], v[44:45], v[23:24]
	ds_load_2addr_b64 v[21:24], v31 offset0:160 offset1:176
	v_fma_f64 v[46:47], v[7:8], v[64:65], -v[46:47]
	v_mul_f64_e32 v[7:8], v[7:8], v[66:67]
	v_fma_f64 v[32:33], v[32:33], 2.0, -v[38:39]
	s_delay_alu instid0(VALU_DEP_2) | instskip(NEXT) | instid1(VALU_DEP_4)
	v_fma_f64 v[7:8], v[19:20], v[64:65], v[7:8]
	v_add_f64_e64 v[19:20], v[78:79], -v[46:47]
	v_add_f64_e64 v[46:47], v[82:83], -v[62:63]
	v_fma_f64 v[62:63], v[86:87], 2.0, -v[9:10]
	s_wait_loadcnt_dscnt 0x100
	v_mul_f64_e32 v[44:45], v[21:22], v[17:18]
	s_wait_loadcnt 0x0
	v_mul_f64_e32 v[66:67], v[23:24], v[5:6]
	v_mul_f64_e32 v[5:6], v[13:14], v[5:6]
	s_delay_alu instid0(VALU_DEP_3) | instskip(SKIP_1) | instid1(VALU_DEP_4)
	v_fma_f64 v[44:45], v[11:12], v[15:16], -v[44:45]
	v_mul_f64_e32 v[11:12], v[11:12], v[17:18]
	v_fma_f64 v[66:67], v[13:14], v[3:4], -v[66:67]
	s_delay_alu instid0(VALU_DEP_4)
	v_fma_f64 v[3:4], v[23:24], v[3:4], v[5:6]
	ds_load_b64 v[5:6], v25
	ds_load_b64 v[23:24], v27
	v_add_f64_e64 v[13:14], v[72:73], -v[68:69]
	v_fma_f64 v[68:69], v[82:83], 2.0, -v[46:47]
	global_wb scope:SCOPE_SE
	s_wait_dscnt 0x0
	s_barrier_signal -1
	s_barrier_wait -1
	global_inv scope:SCOPE_SE
	v_add_f64_e64 v[7:8], v[23:24], -v[7:8]
	v_add_f64_e64 v[17:18], v[34:35], -v[44:45]
	v_fma_f64 v[11:12], v[21:22], v[15:16], v[11:12]
	v_add_f64_e64 v[15:16], v[74:75], -v[70:71]
	v_add_f64_e64 v[21:22], v[40:41], -v[66:67]
	;; [unrolled: 1-line block ×4, first 2 shown]
	v_fma_f64 v[60:61], v[72:73], 2.0, -v[13:14]
	v_fma_f64 v[66:67], v[78:79], 2.0, -v[19:20]
	v_add_f64_e64 v[38:39], v[13:14], -v[38:39]
	v_fma_f64 v[23:24], v[23:24], 2.0, -v[7:8]
	v_fma_f64 v[34:35], v[34:35], 2.0, -v[17:18]
	v_add_f64_e64 v[11:12], v[36:37], -v[11:12]
	v_fma_f64 v[64:65], v[74:75], 2.0, -v[15:16]
	v_fma_f64 v[40:41], v[40:41], 2.0, -v[21:22]
	;; [unrolled: 1-line block ×4, first 2 shown]
	v_add_f64_e64 v[62:63], v[60:61], -v[62:63]
	v_add_f64_e32 v[70:71], v[44:45], v[9:10]
	v_add_f64_e32 v[17:18], v[46:47], v[17:18]
	v_add_f64_e64 v[3:4], v[19:20], -v[3:4]
	v_add_f64_e32 v[21:22], v[7:8], v[21:22]
	v_fma_f64 v[9:10], v[13:14], 2.0, -v[38:39]
	v_mul_u32_u24_e32 v74, 3, v51
	v_fma_f64 v[36:37], v[36:37], 2.0, -v[11:12]
	v_add_f64_e64 v[11:12], v[15:16], -v[11:12]
	v_add_f64_e64 v[34:35], v[64:65], -v[34:35]
	;; [unrolled: 1-line block ×5, first 2 shown]
	v_fma_f64 v[44:45], v[44:45], 2.0, -v[70:71]
	v_fma_f64 v[46:47], v[46:47], 2.0, -v[17:18]
	;; [unrolled: 1-line block ×4, first 2 shown]
	v_add_f64_e64 v[36:37], v[68:69], -v[36:37]
	v_fma_f64 v[13:14], v[15:16], 2.0, -v[11:12]
	v_fma_f64 v[15:16], v[60:61], 2.0, -v[62:63]
	;; [unrolled: 1-line block ×6, first 2 shown]
	v_and_b32_e32 v5, 0xff, v58
	v_lshlrev_b32_e32 v58, 4, v74
	s_delay_alu instid0(VALU_DEP_2)
	v_lshl_add_u32 v74, v5, 3, v1
	ds_store_2addr_b64 v53, v[62:63], v[38:39] offset0:12 offset1:18
	ds_store_2addr_b64 v53, v[15:16], v[9:10] offset1:6
	ds_store_2addr_b64 v56, v[60:61], v[13:14] offset1:6
	ds_store_2addr_b64 v56, v[34:35], v[11:12] offset0:12 offset1:18
	ds_store_2addr_b64 v74, v[64:65], v[19:20] offset1:6
	ds_store_2addr_b64 v74, v[40:41], v[3:4] offset0:12 offset1:18
	v_fma_f64 v[68:69], v[68:69], 2.0, -v[36:37]
	global_wb scope:SCOPE_SE
	s_wait_dscnt 0x0
	s_barrier_signal -1
	s_barrier_wait -1
	global_inv scope:SCOPE_SE
	ds_load_2addr_b64 v[3:6], v31 offset0:96 offset1:112
	ds_load_2addr_b64 v[7:10], v31 offset0:128 offset1:144
	ds_load_b64 v[76:77], v25
	ds_load_b64 v[78:79], v26
	;; [unrolled: 1-line block ×4, first 2 shown]
	ds_load_2addr_b64 v[13:16], v31 offset0:160 offset1:176
	ds_load_b64 v[84:85], v27
	ds_load_b64 v[86:87], v30
	global_wb scope:SCOPE_SE
	s_wait_dscnt 0x0
	s_barrier_signal -1
	s_barrier_wait -1
	global_inv scope:SCOPE_SE
	ds_store_2addr_b64 v53, v[66:67], v[44:45] offset1:6
	ds_store_2addr_b64 v53, v[32:33], v[70:71] offset0:12 offset1:18
	ds_store_2addr_b64 v56, v[68:69], v[46:47] offset1:6
	ds_store_2addr_b64 v56, v[36:37], v[17:18] offset0:12 offset1:18
	;; [unrolled: 2-line block ×3, first 2 shown]
	global_wb scope:SCOPE_SE
	s_wait_dscnt 0x0
	s_barrier_signal -1
	s_barrier_wait -1
	global_inv scope:SCOPE_SE
	global_load_b128 v[17:20], v58, s[4:5] offset:304
	v_dual_mov_b32 v12, 0 :: v_dual_add_nc_u32 v11, -8, v51
	s_wait_alu 0xf1ff
	s_delay_alu instid0(VALU_DEP_1) | instskip(NEXT) | instid1(VALU_DEP_1)
	v_cndmask_b32_e64 v51, v11, v50, s0
	v_mul_i32_i24_e32 v11, 3, v51
	s_delay_alu instid0(VALU_DEP_1) | instskip(NEXT) | instid1(VALU_DEP_1)
	v_lshlrev_b64_e32 v[21:22], 4, v[11:12]
	v_add_co_u32 v44, s0, s4, v21
	s_wait_alu 0xf1ff
	s_delay_alu instid0(VALU_DEP_2)
	v_add_co_ci_u32_e64 v45, s0, s5, v22, s0
	s_clause 0x7
	global_load_b128 v[21:24], v[44:45], off offset:304
	global_load_b128 v[32:35], v58, s[4:5] offset:288
	global_load_b128 v[36:39], v[44:45], off offset:288
	global_load_b128 v[40:43], v58, s[4:5] offset:320
	;; [unrolled: 2-line block ×3, first 2 shown]
	global_load_b128 v[64:67], v58, s[4:5] offset:704
	global_load_b128 v[68:71], v58, s[4:5] offset:672
	ds_load_2addr_b64 v[72:75], v31 offset0:96 offset1:112
	v_cmp_lt_u32_e64 s0, 23, v50
	s_wait_alu 0xf1ff
	s_delay_alu instid0(VALU_DEP_1) | instskip(NEXT) | instid1(VALU_DEP_1)
	v_cndmask_b32_e64 v11, 0, 0x60, s0
	v_or_b32_e32 v11, v11, v51
	v_add3_u32 v51, 0, v2, v0
	s_delay_alu instid0(VALU_DEP_2) | instskip(SKIP_3) | instid1(VALU_DEP_2)
	v_lshl_add_u32 v53, v11, 3, v1
	s_wait_loadcnt_dscnt 0x800
	v_mul_f64_e32 v[88:89], v[72:73], v[19:20]
	v_mul_f64_e32 v[19:20], v[3:4], v[19:20]
	v_fma_f64 v[88:89], v[3:4], v[17:18], -v[88:89]
	s_wait_loadcnt 0x7
	v_mul_f64_e32 v[3:4], v[74:75], v[23:24]
	s_delay_alu instid0(VALU_DEP_3) | instskip(SKIP_3) | instid1(VALU_DEP_4)
	v_fma_f64 v[72:73], v[72:73], v[17:18], v[19:20]
	v_mul_f64_e32 v[17:18], v[5:6], v[23:24]
	s_wait_loadcnt 0x6
	v_mul_f64_e32 v[19:20], v[78:79], v[34:35]
	v_fma_f64 v[23:24], v[5:6], v[21:22], -v[3:4]
	ds_load_b64 v[3:4], v26
	v_fma_f64 v[21:22], v[74:75], v[21:22], v[17:18]
	ds_load_b64 v[74:75], v29
	ds_load_b64 v[17:18], v28
	s_wait_dscnt 0x2
	v_mul_f64_e32 v[5:6], v[3:4], v[34:35]
	s_wait_loadcnt_dscnt 0x500
	v_mul_f64_e32 v[34:35], v[17:18], v[38:39]
	v_mul_f64_e32 v[38:39], v[82:83], v[38:39]
	v_add_f64_e64 v[21:22], v[74:75], -v[21:22]
	s_delay_alu instid0(VALU_DEP_4)
	v_fma_f64 v[78:79], v[78:79], v[32:33], -v[5:6]
	v_fma_f64 v[32:33], v[3:4], v[32:33], v[19:20]
	ds_load_2addr_b64 v[3:6], v31 offset0:128 offset1:144
	v_fma_f64 v[34:35], v[82:83], v[36:37], -v[34:35]
	v_fma_f64 v[36:37], v[17:18], v[36:37], v[38:39]
	ds_load_2addr_b64 v[17:20], v31 offset0:160 offset1:176
	s_wait_loadcnt_dscnt 0x401
	v_mul_f64_e32 v[90:91], v[5:6], v[42:43]
	v_mul_f64_e32 v[42:43], v[9:10], v[42:43]
	s_wait_loadcnt_dscnt 0x300
	v_mul_f64_e32 v[38:39], v[17:18], v[46:47]
	s_delay_alu instid0(VALU_DEP_3) | instskip(NEXT) | instid1(VALU_DEP_3)
	v_fma_f64 v[9:10], v[9:10], v[40:41], -v[90:91]
	v_fma_f64 v[5:6], v[5:6], v[40:41], v[42:43]
	v_mul_f64_e32 v[40:41], v[13:14], v[46:47]
	s_delay_alu instid0(VALU_DEP_4)
	v_fma_f64 v[13:14], v[13:14], v[44:45], -v[38:39]
	ds_load_b64 v[38:39], v30
	s_wait_loadcnt 0x2
	v_mul_f64_e32 v[42:43], v[3:4], v[62:63]
	s_wait_loadcnt 0x0
	v_mul_f64_e32 v[46:47], v[86:87], v[70:71]
	v_add_f64_e64 v[9:10], v[78:79], -v[9:10]
	v_add_f64_e64 v[5:6], v[32:33], -v[5:6]
	v_fma_f64 v[17:18], v[17:18], v[44:45], v[40:41]
	v_mul_f64_e32 v[40:41], v[19:20], v[66:67]
	s_wait_dscnt 0x0
	v_mul_f64_e32 v[44:45], v[38:39], v[70:71]
	v_fma_f64 v[42:43], v[7:8], v[60:61], -v[42:43]
	v_mul_f64_e32 v[7:8], v[7:8], v[62:63]
	v_fma_f64 v[38:39], v[38:39], v[68:69], v[46:47]
	v_add_f64_e64 v[13:14], v[34:35], -v[13:14]
	v_fma_f64 v[70:71], v[74:75], 2.0, -v[21:22]
	v_fma_f64 v[32:33], v[32:33], 2.0, -v[5:6]
	v_add_f64_e64 v[17:18], v[36:37], -v[17:18]
	v_fma_f64 v[40:41], v[15:16], v[64:65], -v[40:41]
	v_mul_f64_e32 v[15:16], v[15:16], v[66:67]
	v_fma_f64 v[44:45], v[86:87], v[68:69], -v[44:45]
	v_fma_f64 v[3:4], v[3:4], v[60:61], v[7:8]
	v_fma_f64 v[34:35], v[34:35], 2.0, -v[13:14]
	v_add_f64_e32 v[74:75], v[21:22], v[13:14]
	v_fma_f64 v[36:37], v[36:37], 2.0, -v[17:18]
	v_fma_f64 v[7:8], v[19:20], v[64:65], v[15:16]
	v_add_f64_e64 v[15:16], v[76:77], -v[88:89]
	v_add_f64_e64 v[19:20], v[80:81], -v[23:24]
	;; [unrolled: 1-line block ×4, first 2 shown]
	ds_load_b64 v[42:43], v25
	ds_load_b64 v[46:47], v27
	v_fma_f64 v[64:65], v[78:79], 2.0, -v[9:10]
	global_wb scope:SCOPE_SE
	s_wait_dscnt 0x0
	s_barrier_signal -1
	s_barrier_wait -1
	global_inv scope:SCOPE_SE
	v_add_f64_e64 v[60:61], v[42:43], -v[72:73]
	v_add_f64_e64 v[3:4], v[46:47], -v[3:4]
	;; [unrolled: 1-line block ×4, first 2 shown]
	v_fma_f64 v[62:63], v[76:77], 2.0, -v[15:16]
	v_fma_f64 v[66:67], v[80:81], 2.0, -v[19:20]
	;; [unrolled: 1-line block ×4, first 2 shown]
	v_add_f64_e64 v[5:6], v[15:16], -v[5:6]
	v_add_f64_e64 v[17:18], v[19:20], -v[17:18]
	v_fma_f64 v[42:43], v[42:43], 2.0, -v[60:61]
	v_fma_f64 v[46:47], v[46:47], 2.0, -v[3:4]
	v_add_f64_e32 v[72:73], v[60:61], v[9:10]
	v_add_f64_e32 v[40:41], v[3:4], v[40:41]
	v_fma_f64 v[38:39], v[38:39], 2.0, -v[7:8]
	v_add_f64_e64 v[64:65], v[62:63], -v[64:65]
	v_add_f64_e64 v[34:35], v[66:67], -v[34:35]
	;; [unrolled: 1-line block ×4, first 2 shown]
	v_fma_f64 v[9:10], v[15:16], 2.0, -v[5:6]
	v_fma_f64 v[13:14], v[19:20], 2.0, -v[17:18]
	v_add_f64_e64 v[32:33], v[42:43], -v[32:33]
	v_fma_f64 v[60:61], v[60:61], 2.0, -v[72:73]
	v_add_f64_e64 v[38:39], v[46:47], -v[38:39]
	v_fma_f64 v[15:16], v[62:63], 2.0, -v[64:65]
	v_fma_f64 v[19:20], v[66:67], 2.0, -v[34:35]
	;; [unrolled: 1-line block ×7, first 2 shown]
	ds_store_2addr_b64 v31, v[64:65], v[5:6] offset0:48 offset1:72
	ds_store_2addr_b64 v31, v[15:16], v[9:10] offset1:24
	ds_store_2addr_b64 v53, v[19:20], v[13:14] offset1:24
	ds_store_2addr_b64 v53, v[34:35], v[17:18] offset0:48 offset1:72
	ds_store_b64 v31, v[62:63] offset:832
	ds_store_2addr_b64 v51, v[23:24], v[44:45] offset0:128 offset1:152
	ds_store_b64 v51, v[7:8] offset:1408
	v_fma_f64 v[42:43], v[42:43], 2.0, -v[32:33]
	v_fma_f64 v[46:47], v[46:47], 2.0, -v[38:39]
	global_wb scope:SCOPE_SE
	s_wait_dscnt 0x0
	s_barrier_signal -1
	s_barrier_wait -1
	global_inv scope:SCOPE_SE
	ds_load_b64 v[13:14], v25
	ds_load_2addr_b64 v[0:3], v31 offset0:96 offset1:112
	ds_load_2addr_b64 v[4:7], v31 offset0:128 offset1:144
	ds_load_b64 v[15:16], v28
	ds_load_b64 v[19:20], v29
	;; [unrolled: 1-line block ×3, first 2 shown]
	ds_load_2addr_b64 v[8:11], v31 offset0:160 offset1:176
	ds_load_b64 v[23:24], v27
	ds_load_b64 v[21:22], v30
	global_wb scope:SCOPE_SE
	s_wait_dscnt 0x0
	s_barrier_signal -1
	s_barrier_wait -1
	global_inv scope:SCOPE_SE
	ds_store_2addr_b64 v31, v[42:43], v[60:61] offset1:24
	ds_store_2addr_b64 v31, v[32:33], v[72:73] offset0:48 offset1:72
	ds_store_2addr_b64 v53, v[68:69], v[66:67] offset1:24
	ds_store_2addr_b64 v53, v[36:37], v[74:75] offset0:48 offset1:72
	ds_store_b64 v31, v[46:47] offset:832
	ds_store_2addr_b64 v51, v[70:71], v[38:39] offset0:128 offset1:152
	ds_store_b64 v51, v[40:41] offset:1408
	global_wb scope:SCOPE_SE
	s_wait_dscnt 0x0
	s_barrier_signal -1
	s_barrier_wait -1
	global_inv scope:SCOPE_SE
	s_and_saveexec_b32 s0, vcc_lo
	s_cbranch_execz .LBB0_15
; %bb.14:
	v_dual_mov_b32 v58, v12 :: v_dual_mov_b32 v53, v12
	v_dual_mov_b32 v56, v12 :: v_dual_mov_b32 v51, v12
	s_delay_alu instid0(VALU_DEP_2) | instskip(NEXT) | instid1(VALU_DEP_3)
	v_lshlrev_b64_e32 v[32:33], 4, v[57:58]
	v_lshlrev_b64_e32 v[40:41], 4, v[52:53]
	s_delay_alu instid0(VALU_DEP_3)
	v_lshlrev_b64_e32 v[34:35], 4, v[55:56]
	v_mov_b32_e32 v55, v12
	v_lshlrev_b64_e32 v[44:45], 4, v[50:51]
	v_add_co_u32 v32, vcc_lo, s4, v32
	s_wait_alu 0xfffd
	v_add_co_ci_u32_e32 v33, vcc_lo, s5, v33, vcc_lo
	v_add_co_u32 v36, vcc_lo, s4, v34
	v_lshlrev_b64_e32 v[42:43], 4, v[54:55]
	s_wait_alu 0xfffd
	v_add_co_ci_u32_e32 v37, vcc_lo, s5, v35, vcc_lo
	v_add_co_u32 v40, vcc_lo, s4, v40
	s_wait_alu 0xfffd
	v_add_co_ci_u32_e32 v41, vcc_lo, s5, v41, vcc_lo
	v_add_co_u32 v46, vcc_lo, s4, v42
	;; [unrolled: 3-line block ×3, first 2 shown]
	s_wait_alu 0xfffd
	v_add_co_ci_u32_e32 v51, vcc_lo, s5, v45, vcc_lo
	s_clause 0x5
	global_load_b128 v[32:35], v[32:33], off offset:1440
	global_load_b128 v[36:39], v[36:37], off offset:1440
	;; [unrolled: 1-line block ×5, first 2 shown]
	global_load_b128 v[54:57], v59, s[4:5] offset:1440
	ds_load_2addr_b64 v[60:63], v31 offset0:160 offset1:176
	ds_load_2addr_b64 v[64:67], v31 offset0:128 offset1:144
	;; [unrolled: 1-line block ×3, first 2 shown]
	v_add_co_u32 v12, vcc_lo, s8, v48
	s_wait_loadcnt 0x3
	v_mul_f64_e32 v[76:77], v[6:7], v[42:43]
	v_mul_f64_e32 v[72:73], v[10:11], v[34:35]
	s_wait_loadcnt 0x1
	v_mul_f64_e32 v[80:81], v[2:3], v[52:53]
	s_wait_loadcnt 0x0
	v_mul_f64_e32 v[82:83], v[0:1], v[56:57]
	s_wait_dscnt 0x0
	v_mul_f64_e32 v[56:57], v[68:69], v[56:57]
	v_mul_f64_e32 v[52:53], v[70:71], v[52:53]
	;; [unrolled: 1-line block ×8, first 2 shown]
	v_fma_f64 v[72:73], v[62:63], v[32:33], v[72:73]
	v_fma_f64 v[62:63], v[66:67], v[40:41], v[76:77]
	;; [unrolled: 1-line block ×3, first 2 shown]
	v_fma_f64 v[0:1], v[0:1], v[54:55], -v[56:57]
	v_fma_f64 v[66:67], v[70:71], v[50:51], v[80:81]
	v_fma_f64 v[50:51], v[2:3], v[50:51], -v[52:53]
	v_fma_f64 v[64:65], v[64:65], v[44:45], v[78:79]
	v_fma_f64 v[4:5], v[4:5], v[44:45], -v[46:47]
	v_fma_f64 v[40:41], v[6:7], v[40:41], -v[42:43]
	v_fma_f64 v[60:61], v[60:61], v[36:37], v[74:75]
	v_fma_f64 v[37:38], v[8:9], v[36:37], -v[38:39]
	v_fma_f64 v[42:43], v[10:11], v[32:33], -v[34:35]
	ds_load_b64 v[44:45], v30
	ds_load_b64 v[46:47], v28
	;; [unrolled: 1-line block ×6, first 2 shown]
	s_wait_dscnt 0x5
	v_add_f64_e64 v[2:3], v[44:45], -v[72:73]
	s_wait_dscnt 0x3
	v_add_f64_e64 v[10:11], v[52:53], -v[62:63]
	;; [unrolled: 2-line block ×3, first 2 shown]
	v_add_f64_e64 v[33:34], v[13:14], -v[0:1]
	v_add_f64_e64 v[31:32], v[70:71], -v[66:67]
	;; [unrolled: 1-line block ×9, first 2 shown]
	v_fma_f64 v[39:40], v[44:45], 2.0, -v[2:3]
	v_fma_f64 v[52:53], v[52:53], 2.0, -v[10:11]
	;; [unrolled: 1-line block ×12, first 2 shown]
	s_wait_alu 0xfffd
	v_add_co_ci_u32_e32 v13, vcc_lo, s9, v49, vcc_lo
	v_add_co_u32 v12, vcc_lo, v12, v59
	s_wait_alu 0xfffd
	s_delay_alu instid0(VALU_DEP_2)
	v_add_co_ci_u32_e32 v13, vcc_lo, 0, v13, vcc_lo
	s_clause 0xb
	global_store_b128 v[12:13], v[33:36], off offset:1536
	global_store_b128 v[12:13], v[29:32], off offset:1792
	;; [unrolled: 1-line block ×4, first 2 shown]
	global_store_b128 v[12:13], v[64:67], off
	global_store_b128 v[12:13], v[60:63], off offset:256
	global_store_b128 v[12:13], v[54:57], off offset:512
	;; [unrolled: 1-line block ×7, first 2 shown]
.LBB0_15:
	s_nop 0
	s_sendmsg sendmsg(MSG_DEALLOC_VGPRS)
	s_endpgm
	.section	.rodata,"a",@progbits
	.p2align	6, 0x0
	.amdhsa_kernel fft_rtc_fwd_len192_factors_6_4_4_2_wgs_128_tpt_16_halfLds_dp_ip_CI_unitstride_sbrr_dirReg
		.amdhsa_group_segment_fixed_size 0
		.amdhsa_private_segment_fixed_size 0
		.amdhsa_kernarg_size 88
		.amdhsa_user_sgpr_count 2
		.amdhsa_user_sgpr_dispatch_ptr 0
		.amdhsa_user_sgpr_queue_ptr 0
		.amdhsa_user_sgpr_kernarg_segment_ptr 1
		.amdhsa_user_sgpr_dispatch_id 0
		.amdhsa_user_sgpr_private_segment_size 0
		.amdhsa_wavefront_size32 1
		.amdhsa_uses_dynamic_stack 0
		.amdhsa_enable_private_segment 0
		.amdhsa_system_sgpr_workgroup_id_x 1
		.amdhsa_system_sgpr_workgroup_id_y 0
		.amdhsa_system_sgpr_workgroup_id_z 0
		.amdhsa_system_sgpr_workgroup_info 0
		.amdhsa_system_vgpr_workitem_id 0
		.amdhsa_next_free_vgpr 96
		.amdhsa_next_free_sgpr 32
		.amdhsa_reserve_vcc 1
		.amdhsa_float_round_mode_32 0
		.amdhsa_float_round_mode_16_64 0
		.amdhsa_float_denorm_mode_32 3
		.amdhsa_float_denorm_mode_16_64 3
		.amdhsa_fp16_overflow 0
		.amdhsa_workgroup_processor_mode 1
		.amdhsa_memory_ordered 1
		.amdhsa_forward_progress 0
		.amdhsa_round_robin_scheduling 0
		.amdhsa_exception_fp_ieee_invalid_op 0
		.amdhsa_exception_fp_denorm_src 0
		.amdhsa_exception_fp_ieee_div_zero 0
		.amdhsa_exception_fp_ieee_overflow 0
		.amdhsa_exception_fp_ieee_underflow 0
		.amdhsa_exception_fp_ieee_inexact 0
		.amdhsa_exception_int_div_zero 0
	.end_amdhsa_kernel
	.text
.Lfunc_end0:
	.size	fft_rtc_fwd_len192_factors_6_4_4_2_wgs_128_tpt_16_halfLds_dp_ip_CI_unitstride_sbrr_dirReg, .Lfunc_end0-fft_rtc_fwd_len192_factors_6_4_4_2_wgs_128_tpt_16_halfLds_dp_ip_CI_unitstride_sbrr_dirReg
                                        ; -- End function
	.section	.AMDGPU.csdata,"",@progbits
; Kernel info:
; codeLenInByte = 6132
; NumSgprs: 34
; NumVgprs: 96
; ScratchSize: 0
; MemoryBound: 1
; FloatMode: 240
; IeeeMode: 1
; LDSByteSize: 0 bytes/workgroup (compile time only)
; SGPRBlocks: 4
; VGPRBlocks: 11
; NumSGPRsForWavesPerEU: 34
; NumVGPRsForWavesPerEU: 96
; Occupancy: 16
; WaveLimiterHint : 1
; COMPUTE_PGM_RSRC2:SCRATCH_EN: 0
; COMPUTE_PGM_RSRC2:USER_SGPR: 2
; COMPUTE_PGM_RSRC2:TRAP_HANDLER: 0
; COMPUTE_PGM_RSRC2:TGID_X_EN: 1
; COMPUTE_PGM_RSRC2:TGID_Y_EN: 0
; COMPUTE_PGM_RSRC2:TGID_Z_EN: 0
; COMPUTE_PGM_RSRC2:TIDIG_COMP_CNT: 0
	.text
	.p2alignl 7, 3214868480
	.fill 96, 4, 3214868480
	.type	__hip_cuid_58b5d629067ecea9,@object ; @__hip_cuid_58b5d629067ecea9
	.section	.bss,"aw",@nobits
	.globl	__hip_cuid_58b5d629067ecea9
__hip_cuid_58b5d629067ecea9:
	.byte	0                               ; 0x0
	.size	__hip_cuid_58b5d629067ecea9, 1

	.ident	"AMD clang version 19.0.0git (https://github.com/RadeonOpenCompute/llvm-project roc-6.4.0 25133 c7fe45cf4b819c5991fe208aaa96edf142730f1d)"
	.section	".note.GNU-stack","",@progbits
	.addrsig
	.addrsig_sym __hip_cuid_58b5d629067ecea9
	.amdgpu_metadata
---
amdhsa.kernels:
  - .args:
      - .actual_access:  read_only
        .address_space:  global
        .offset:         0
        .size:           8
        .value_kind:     global_buffer
      - .offset:         8
        .size:           8
        .value_kind:     by_value
      - .actual_access:  read_only
        .address_space:  global
        .offset:         16
        .size:           8
        .value_kind:     global_buffer
      - .actual_access:  read_only
        .address_space:  global
        .offset:         24
        .size:           8
        .value_kind:     global_buffer
      - .offset:         32
        .size:           8
        .value_kind:     by_value
      - .actual_access:  read_only
        .address_space:  global
        .offset:         40
        .size:           8
        .value_kind:     global_buffer
      - .actual_access:  read_only
        .address_space:  global
        .offset:         48
        .size:           8
        .value_kind:     global_buffer
      - .offset:         56
        .size:           4
        .value_kind:     by_value
      - .actual_access:  read_only
        .address_space:  global
        .offset:         64
        .size:           8
        .value_kind:     global_buffer
      - .actual_access:  read_only
        .address_space:  global
        .offset:         72
        .size:           8
        .value_kind:     global_buffer
      - .address_space:  global
        .offset:         80
        .size:           8
        .value_kind:     global_buffer
    .group_segment_fixed_size: 0
    .kernarg_segment_align: 8
    .kernarg_segment_size: 88
    .language:       OpenCL C
    .language_version:
      - 2
      - 0
    .max_flat_workgroup_size: 128
    .name:           fft_rtc_fwd_len192_factors_6_4_4_2_wgs_128_tpt_16_halfLds_dp_ip_CI_unitstride_sbrr_dirReg
    .private_segment_fixed_size: 0
    .sgpr_count:     34
    .sgpr_spill_count: 0
    .symbol:         fft_rtc_fwd_len192_factors_6_4_4_2_wgs_128_tpt_16_halfLds_dp_ip_CI_unitstride_sbrr_dirReg.kd
    .uniform_work_group_size: 1
    .uses_dynamic_stack: false
    .vgpr_count:     96
    .vgpr_spill_count: 0
    .wavefront_size: 32
    .workgroup_processor_mode: 1
amdhsa.target:   amdgcn-amd-amdhsa--gfx1201
amdhsa.version:
  - 1
  - 2
...

	.end_amdgpu_metadata
